;; amdgpu-corpus repo=ROCm/rocFFT kind=compiled arch=gfx906 opt=O3
	.text
	.amdgcn_target "amdgcn-amd-amdhsa--gfx906"
	.amdhsa_code_object_version 6
	.protected	fft_rtc_fwd_len630_factors_3_3_5_7_2_wgs_63_tpt_63_halfLds_half_op_CI_CI_unitstride_sbrr_R2C_dirReg ; -- Begin function fft_rtc_fwd_len630_factors_3_3_5_7_2_wgs_63_tpt_63_halfLds_half_op_CI_CI_unitstride_sbrr_R2C_dirReg
	.globl	fft_rtc_fwd_len630_factors_3_3_5_7_2_wgs_63_tpt_63_halfLds_half_op_CI_CI_unitstride_sbrr_R2C_dirReg
	.p2align	8
	.type	fft_rtc_fwd_len630_factors_3_3_5_7_2_wgs_63_tpt_63_halfLds_half_op_CI_CI_unitstride_sbrr_R2C_dirReg,@function
fft_rtc_fwd_len630_factors_3_3_5_7_2_wgs_63_tpt_63_halfLds_half_op_CI_CI_unitstride_sbrr_R2C_dirReg: ; @fft_rtc_fwd_len630_factors_3_3_5_7_2_wgs_63_tpt_63_halfLds_half_op_CI_CI_unitstride_sbrr_R2C_dirReg
; %bb.0:
	s_load_dwordx4 s[8:11], s[4:5], 0x58
	s_load_dwordx4 s[12:15], s[4:5], 0x0
	;; [unrolled: 1-line block ×3, first 2 shown]
	v_mul_u32_u24_e32 v1, 0x411, v0
	v_mov_b32_e32 v5, 0
	v_mov_b32_e32 v10, 0
	s_waitcnt lgkmcnt(0)
	v_cmp_lt_u64_e64 s[0:1], s[14:15], 2
	v_add_u32_sdwa v7, s6, v1 dst_sel:DWORD dst_unused:UNUSED_PAD src0_sel:DWORD src1_sel:WORD_1
	v_mov_b32_e32 v8, v5
	s_and_b64 vcc, exec, s[0:1]
	v_mov_b32_e32 v11, 0
	s_cbranch_vccnz .LBB0_8
; %bb.1:
	s_load_dwordx2 s[0:1], s[4:5], 0x10
	s_add_u32 s2, s18, 8
	s_addc_u32 s3, s19, 0
	s_add_u32 s6, s16, 8
	s_addc_u32 s7, s17, 0
	v_mov_b32_e32 v10, 0
	s_waitcnt lgkmcnt(0)
	s_add_u32 s20, s0, 8
	v_mov_b32_e32 v11, 0
	v_mov_b32_e32 v1, v10
	s_addc_u32 s21, s1, 0
	s_mov_b64 s[22:23], 1
	v_mov_b32_e32 v2, v11
.LBB0_2:                                ; =>This Inner Loop Header: Depth=1
	s_load_dwordx2 s[24:25], s[20:21], 0x0
                                        ; implicit-def: $vgpr3_vgpr4
	s_waitcnt lgkmcnt(0)
	v_or_b32_e32 v6, s25, v8
	v_cmp_ne_u64_e32 vcc, 0, v[5:6]
	s_and_saveexec_b64 s[0:1], vcc
	s_xor_b64 s[26:27], exec, s[0:1]
	s_cbranch_execz .LBB0_4
; %bb.3:                                ;   in Loop: Header=BB0_2 Depth=1
	v_cvt_f32_u32_e32 v3, s24
	v_cvt_f32_u32_e32 v4, s25
	s_sub_u32 s0, 0, s24
	s_subb_u32 s1, 0, s25
	v_mac_f32_e32 v3, 0x4f800000, v4
	v_rcp_f32_e32 v3, v3
	v_mul_f32_e32 v3, 0x5f7ffffc, v3
	v_mul_f32_e32 v4, 0x2f800000, v3
	v_trunc_f32_e32 v4, v4
	v_mac_f32_e32 v3, 0xcf800000, v4
	v_cvt_u32_f32_e32 v4, v4
	v_cvt_u32_f32_e32 v3, v3
	v_mul_lo_u32 v6, s0, v4
	v_mul_hi_u32 v9, s0, v3
	v_mul_lo_u32 v13, s1, v3
	v_mul_lo_u32 v12, s0, v3
	v_add_u32_e32 v6, v9, v6
	v_add_u32_e32 v6, v6, v13
	v_mul_hi_u32 v9, v3, v12
	v_mul_lo_u32 v13, v3, v6
	v_mul_hi_u32 v15, v3, v6
	v_mul_hi_u32 v14, v4, v12
	v_mul_lo_u32 v12, v4, v12
	v_mul_hi_u32 v16, v4, v6
	v_add_co_u32_e32 v9, vcc, v9, v13
	v_addc_co_u32_e32 v13, vcc, 0, v15, vcc
	v_mul_lo_u32 v6, v4, v6
	v_add_co_u32_e32 v9, vcc, v9, v12
	v_addc_co_u32_e32 v9, vcc, v13, v14, vcc
	v_addc_co_u32_e32 v12, vcc, 0, v16, vcc
	v_add_co_u32_e32 v6, vcc, v9, v6
	v_addc_co_u32_e32 v9, vcc, 0, v12, vcc
	v_add_co_u32_e32 v3, vcc, v3, v6
	v_addc_co_u32_e32 v4, vcc, v4, v9, vcc
	v_mul_lo_u32 v6, s0, v4
	v_mul_hi_u32 v9, s0, v3
	v_mul_lo_u32 v12, s1, v3
	v_mul_lo_u32 v13, s0, v3
	v_add_u32_e32 v6, v9, v6
	v_add_u32_e32 v6, v6, v12
	v_mul_lo_u32 v14, v3, v6
	v_mul_hi_u32 v15, v3, v13
	v_mul_hi_u32 v16, v3, v6
	v_mul_hi_u32 v12, v4, v13
	v_mul_lo_u32 v13, v4, v13
	v_mul_hi_u32 v9, v4, v6
	v_add_co_u32_e32 v14, vcc, v15, v14
	v_addc_co_u32_e32 v15, vcc, 0, v16, vcc
	v_mul_lo_u32 v6, v4, v6
	v_add_co_u32_e32 v13, vcc, v14, v13
	v_addc_co_u32_e32 v12, vcc, v15, v12, vcc
	v_addc_co_u32_e32 v9, vcc, 0, v9, vcc
	v_add_co_u32_e32 v6, vcc, v12, v6
	v_addc_co_u32_e32 v9, vcc, 0, v9, vcc
	v_add_co_u32_e32 v6, vcc, v3, v6
	v_addc_co_u32_e32 v9, vcc, v4, v9, vcc
	v_mad_u64_u32 v[3:4], s[0:1], v7, v9, 0
	v_mul_hi_u32 v12, v7, v6
	v_add_co_u32_e32 v14, vcc, v12, v3
	v_addc_co_u32_e32 v15, vcc, 0, v4, vcc
	v_mad_u64_u32 v[3:4], s[0:1], v8, v6, 0
	v_mad_u64_u32 v[12:13], s[0:1], v8, v9, 0
	v_add_co_u32_e32 v3, vcc, v14, v3
	v_addc_co_u32_e32 v3, vcc, v15, v4, vcc
	v_addc_co_u32_e32 v4, vcc, 0, v13, vcc
	v_add_co_u32_e32 v6, vcc, v3, v12
	v_addc_co_u32_e32 v9, vcc, 0, v4, vcc
	v_mul_lo_u32 v12, s25, v6
	v_mul_lo_u32 v13, s24, v9
	v_mad_u64_u32 v[3:4], s[0:1], s24, v6, 0
	v_add3_u32 v4, v4, v13, v12
	v_sub_u32_e32 v12, v8, v4
	v_mov_b32_e32 v13, s25
	v_sub_co_u32_e32 v3, vcc, v7, v3
	v_subb_co_u32_e64 v12, s[0:1], v12, v13, vcc
	v_subrev_co_u32_e64 v13, s[0:1], s24, v3
	v_subbrev_co_u32_e64 v12, s[0:1], 0, v12, s[0:1]
	v_cmp_le_u32_e64 s[0:1], s25, v12
	v_cndmask_b32_e64 v14, 0, -1, s[0:1]
	v_cmp_le_u32_e64 s[0:1], s24, v13
	v_cndmask_b32_e64 v13, 0, -1, s[0:1]
	v_cmp_eq_u32_e64 s[0:1], s25, v12
	v_cndmask_b32_e64 v12, v14, v13, s[0:1]
	v_add_co_u32_e64 v13, s[0:1], 2, v6
	v_addc_co_u32_e64 v14, s[0:1], 0, v9, s[0:1]
	v_add_co_u32_e64 v15, s[0:1], 1, v6
	v_addc_co_u32_e64 v16, s[0:1], 0, v9, s[0:1]
	v_subb_co_u32_e32 v4, vcc, v8, v4, vcc
	v_cmp_ne_u32_e64 s[0:1], 0, v12
	v_cmp_le_u32_e32 vcc, s25, v4
	v_cndmask_b32_e64 v12, v16, v14, s[0:1]
	v_cndmask_b32_e64 v14, 0, -1, vcc
	v_cmp_le_u32_e32 vcc, s24, v3
	v_cndmask_b32_e64 v3, 0, -1, vcc
	v_cmp_eq_u32_e32 vcc, s25, v4
	v_cndmask_b32_e32 v3, v14, v3, vcc
	v_cmp_ne_u32_e32 vcc, 0, v3
	v_cndmask_b32_e64 v3, v15, v13, s[0:1]
	v_cndmask_b32_e32 v4, v9, v12, vcc
	v_cndmask_b32_e32 v3, v6, v3, vcc
.LBB0_4:                                ;   in Loop: Header=BB0_2 Depth=1
	s_andn2_saveexec_b64 s[0:1], s[26:27]
	s_cbranch_execz .LBB0_6
; %bb.5:                                ;   in Loop: Header=BB0_2 Depth=1
	v_cvt_f32_u32_e32 v3, s24
	s_sub_i32 s26, 0, s24
	v_rcp_iflag_f32_e32 v3, v3
	v_mul_f32_e32 v3, 0x4f7ffffe, v3
	v_cvt_u32_f32_e32 v3, v3
	v_mul_lo_u32 v4, s26, v3
	v_mul_hi_u32 v4, v3, v4
	v_add_u32_e32 v3, v3, v4
	v_mul_hi_u32 v3, v7, v3
	v_mul_lo_u32 v4, v3, s24
	v_add_u32_e32 v6, 1, v3
	v_sub_u32_e32 v4, v7, v4
	v_subrev_u32_e32 v9, s24, v4
	v_cmp_le_u32_e32 vcc, s24, v4
	v_cndmask_b32_e32 v4, v4, v9, vcc
	v_cndmask_b32_e32 v3, v3, v6, vcc
	v_add_u32_e32 v6, 1, v3
	v_cmp_le_u32_e32 vcc, s24, v4
	v_cndmask_b32_e32 v3, v3, v6, vcc
	v_mov_b32_e32 v4, v5
.LBB0_6:                                ;   in Loop: Header=BB0_2 Depth=1
	s_or_b64 exec, exec, s[0:1]
	v_mul_lo_u32 v6, v4, s24
	v_mul_lo_u32 v9, v3, s25
	v_mad_u64_u32 v[12:13], s[0:1], v3, s24, 0
	s_load_dwordx2 s[0:1], s[6:7], 0x0
	s_load_dwordx2 s[24:25], s[2:3], 0x0
	v_add3_u32 v6, v13, v9, v6
	v_sub_co_u32_e32 v7, vcc, v7, v12
	v_subb_co_u32_e32 v6, vcc, v8, v6, vcc
	s_waitcnt lgkmcnt(0)
	v_mul_lo_u32 v8, s0, v6
	v_mul_lo_u32 v9, s1, v7
	v_mad_u64_u32 v[10:11], s[0:1], s0, v7, v[10:11]
	v_mul_lo_u32 v6, s24, v6
	v_mul_lo_u32 v12, s25, v7
	v_mad_u64_u32 v[1:2], s[0:1], s24, v7, v[1:2]
	s_add_u32 s22, s22, 1
	s_addc_u32 s23, s23, 0
	s_add_u32 s2, s2, 8
	v_add3_u32 v2, v12, v2, v6
	s_addc_u32 s3, s3, 0
	v_mov_b32_e32 v6, s14
	s_add_u32 s6, s6, 8
	v_mov_b32_e32 v7, s15
	s_addc_u32 s7, s7, 0
	v_cmp_ge_u64_e32 vcc, s[22:23], v[6:7]
	s_add_u32 s20, s20, 8
	v_add3_u32 v11, v9, v11, v8
	s_addc_u32 s21, s21, 0
	s_cbranch_vccnz .LBB0_9
; %bb.7:                                ;   in Loop: Header=BB0_2 Depth=1
	v_mov_b32_e32 v8, v4
	v_mov_b32_e32 v7, v3
	s_branch .LBB0_2
.LBB0_8:
	v_mov_b32_e32 v1, v10
	v_mov_b32_e32 v3, v7
	;; [unrolled: 1-line block ×4, first 2 shown]
.LBB0_9:
	s_load_dwordx2 s[0:1], s[4:5], 0x28
	s_lshl_b64 s[6:7], s[14:15], 3
	s_add_u32 s2, s18, s6
	s_addc_u32 s3, s19, s7
                                        ; implicit-def: $vgpr5
                                        ; implicit-def: $vgpr9
                                        ; implicit-def: $vgpr8
                                        ; implicit-def: $vgpr7
	s_waitcnt lgkmcnt(0)
	v_cmp_gt_u64_e32 vcc, s[0:1], v[3:4]
	v_cmp_le_u64_e64 s[0:1], s[0:1], v[3:4]
	s_and_saveexec_b64 s[4:5], s[0:1]
	s_xor_b64 s[0:1], exec, s[4:5]
; %bb.10:
	s_mov_b32 s4, 0x4104105
	v_mul_hi_u32 v5, v0, s4
                                        ; implicit-def: $vgpr10_vgpr11
	v_mul_u32_u24_e32 v5, 63, v5
	v_sub_u32_e32 v5, v0, v5
	v_add_u32_e32 v9, 63, v5
	v_add_u32_e32 v8, 0x7e, v5
	;; [unrolled: 1-line block ×3, first 2 shown]
                                        ; implicit-def: $vgpr0
; %bb.11:
	s_andn2_saveexec_b64 s[4:5], s[0:1]
	s_cbranch_execz .LBB0_13
; %bb.12:
	s_add_u32 s0, s16, s6
	s_addc_u32 s1, s17, s7
	s_load_dwordx2 s[0:1], s[0:1], 0x0
	s_mov_b32 s6, 0x4104105
	v_mul_hi_u32 v5, v0, s6
	s_waitcnt lgkmcnt(0)
	v_mul_lo_u32 v8, s1, v3
	v_mul_lo_u32 v9, s0, v4
	v_mad_u64_u32 v[6:7], s[0:1], s0, v3, 0
	v_mul_u32_u24_e32 v5, 63, v5
	v_sub_u32_e32 v5, v0, v5
	v_add3_u32 v7, v7, v9, v8
	v_lshlrev_b64 v[6:7], 2, v[6:7]
	v_mov_b32_e32 v0, s9
	v_add_co_u32_e64 v8, s[0:1], s8, v6
	v_addc_co_u32_e64 v0, s[0:1], v0, v7, s[0:1]
	v_lshlrev_b64 v[6:7], 2, v[10:11]
	v_lshlrev_b32_e32 v10, 2, v5
	v_add_co_u32_e64 v6, s[0:1], v8, v6
	v_addc_co_u32_e64 v0, s[0:1], v0, v7, s[0:1]
	v_add_co_u32_e64 v6, s[0:1], v6, v10
	v_addc_co_u32_e64 v7, s[0:1], 0, v0, s[0:1]
	global_load_dword v0, v[6:7], off
	global_load_dword v11, v[6:7], off offset:252
	global_load_dword v12, v[6:7], off offset:504
	;; [unrolled: 1-line block ×9, first 2 shown]
	v_add_u32_e32 v9, 63, v5
	v_add_u32_e32 v8, 0x7e, v5
	;; [unrolled: 1-line block ×7, first 2 shown]
	s_waitcnt vmcnt(8)
	ds_write2_b32 v6, v0, v11 offset1:63
	s_waitcnt vmcnt(6)
	ds_write2_b32 v6, v12, v13 offset0:126 offset1:189
	s_waitcnt vmcnt(4)
	ds_write2_b32 v10, v14, v15 offset0:124 offset1:187
	;; [unrolled: 2-line block ×4, first 2 shown]
.LBB0_13:
	s_or_b64 exec, exec, s[4:5]
	v_lshl_add_u32 v0, v5, 2, 0
	v_add_u32_e32 v6, 0x200, v0
	v_add_u32_e32 v14, 0x400, v0
	s_load_dwordx2 s[4:5], s[2:3], 0x0
	s_waitcnt lgkmcnt(0)
	; wave barrier
	s_waitcnt lgkmcnt(0)
	ds_read2_b32 v[10:11], v0 offset1:63
	ds_read2_b32 v[12:13], v6 offset0:82 offset1:145
	ds_read2_b32 v[15:16], v14 offset0:164 offset1:227
	s_movk_i32 s0, 0x3aee
	ds_read2_b32 v[21:22], v14 offset0:80 offset1:143
	s_mov_b32 s1, 0xffff
	s_waitcnt lgkmcnt(2)
	v_pk_add_f16 v6, v11, v13
	v_pk_add_f16 v17, v10, v12
	s_waitcnt lgkmcnt(1)
	v_pk_add_f16 v18, v12, v15
	v_pk_add_f16 v19, v12, v15 neg_lo:[0,1] neg_hi:[0,1]
	v_pk_add_f16 v23, v13, v16
	v_pk_add_f16 v24, v13, v16 neg_lo:[0,1] neg_hi:[0,1]
	ds_read2_b32 v[12:13], v0 offset0:126 offset1:189
	v_pk_add_f16 v6, v6, v16
	v_pk_add_f16 v17, v17, v15
	v_add_u32_e32 v15, 0x800, v0
	v_pk_fma_f16 v10, v18, 0.5, v10 op_sel_hi:[1,0,1] neg_lo:[1,0,0] neg_hi:[1,0,0]
	v_pk_mul_f16 v16, v19, s0 op_sel_hi:[1,0]
	v_pk_add_f16 v18, v10, v16 op_sel:[0,1] op_sel_hi:[1,0]
	v_pk_add_f16 v10, v10, v16 op_sel:[0,1] op_sel_hi:[1,0] neg_lo:[0,1] neg_hi:[0,1]
	ds_read2_b32 v[15:16], v15 offset0:34 offset1:97
	v_lshl_add_u32 v19, v5, 3, v0
	v_bfi_b32 v20, s1, v18, v10
	v_bfi_b32 v10, s1, v10, v18
	s_waitcnt lgkmcnt(0)
	; wave barrier
	s_waitcnt lgkmcnt(0)
	ds_write_b32 v19, v10 offset:8
	v_pk_add_f16 v10, v13, v22
	ds_write2_b32 v19, v17, v20 offset1:1
	v_pk_add_f16 v20, v10, v16
	v_pk_fma_f16 v10, v23, 0.5, v11 op_sel_hi:[1,0,1] neg_lo:[1,0,0] neg_hi:[1,0,0]
	v_pk_mul_f16 v11, v24, s0 op_sel_hi:[1,0]
	v_pk_add_f16 v17, v10, v11 op_sel:[0,1] op_sel_hi:[1,0]
	v_pk_add_f16 v10, v10, v11 op_sel:[0,1] op_sel_hi:[1,0] neg_lo:[0,1] neg_hi:[0,1]
	v_mad_i32_i24 v18, v9, 12, 0
	v_bfi_b32 v11, s1, v17, v10
	ds_write2_b32 v18, v6, v11 offset1:1
	v_pk_add_f16 v6, v22, v16
	v_bfi_b32 v10, s1, v10, v17
	v_pk_fma_f16 v6, v6, 0.5, v13 op_sel_hi:[1,0,1] neg_lo:[1,0,0] neg_hi:[1,0,0]
	v_pk_add_f16 v11, v21, v15
	v_pk_add_f16 v13, v22, v16 neg_lo:[0,1] neg_hi:[0,1]
	ds_write_b32 v18, v10 offset:8
	v_pk_add_f16 v10, v21, v15 neg_lo:[0,1] neg_hi:[0,1]
	v_pk_fma_f16 v11, v11, 0.5, v12 op_sel_hi:[1,0,1] neg_lo:[1,0,0] neg_hi:[1,0,0]
	v_pk_add_f16 v12, v12, v21
	v_pk_mul_f16 v13, v13, s0 op_sel_hi:[1,0]
	v_pk_mul_f16 v10, v10, s0 op_sel_hi:[1,0]
	v_pk_add_f16 v19, v6, v13 op_sel:[0,1] op_sel_hi:[1,0] neg_lo:[0,1] neg_hi:[0,1]
	v_pk_add_f16 v16, v6, v13 op_sel:[0,1] op_sel_hi:[1,0]
	v_pk_add_f16 v6, v12, v15
	v_pk_add_f16 v12, v11, v10 op_sel:[0,1] op_sel_hi:[1,0]
	v_pk_add_f16 v10, v11, v10 op_sel:[0,1] op_sel_hi:[1,0] neg_lo:[0,1] neg_hi:[0,1]
	v_bfi_b32 v17, s1, v19, v16
	v_lshrrev_b32_e32 v27, 16, v19
	v_mad_i32_i24 v19, v8, 12, 0
	v_bfi_b32 v11, s1, v12, v10
	ds_write2_b32 v19, v6, v11 offset1:1
	v_bfi_b32 v6, s1, v10, v12
	v_cmp_gt_u32_e64 s[0:1], 21, v5
	ds_write_b32 v19, v6 offset:8
	s_and_saveexec_b64 s[2:3], s[0:1]
	s_cbranch_execz .LBB0_15
; %bb.14:
	s_mov_b32 s6, 0x5040100
	v_mad_i32_i24 v6, v7, 12, 0
	v_perm_b32 v10, v27, v16, s6
	ds_write2_b32 v6, v20, v10 offset1:1
	ds_write_b32 v6, v17 offset:8
.LBB0_15:
	s_or_b64 exec, exec, s[2:3]
	v_lshlrev_b32_e32 v6, 3, v9
	v_lshlrev_b32_e32 v21, 3, v8
	v_sub_u32_e32 v23, v18, v6
	v_sub_u32_e32 v22, v19, v21
	s_waitcnt lgkmcnt(0)
	; wave barrier
	s_waitcnt lgkmcnt(0)
	ds_read2_b32 v[12:13], v0 offset1:210
	ds_read2_b32 v[10:11], v14 offset0:164 offset1:227
	ds_read2_b32 v[14:15], v14 offset0:17 offset1:80
	ds_read_b32 v22, v22
	ds_read_b32 v23, v23
	ds_read_b32 v30, v0 offset:2184
	v_lshl_add_u32 v24, v7, 2, 0
	s_and_saveexec_b64 s[2:3], s[0:1]
	s_cbranch_execz .LBB0_17
; %bb.16:
	v_add_u32_e32 v16, 0x600, v0
	ds_read2_b32 v[16:17], v16 offset0:15 offset1:225
	ds_read_b32 v20, v24
	s_waitcnt lgkmcnt(1)
	v_lshrrev_b32_e32 v27, 16, v16
.LBB0_17:
	s_or_b64 exec, exec, s[2:3]
	s_movk_i32 s2, 0xab
	v_mul_lo_u16_sdwa v25, v7, s2 dst_sel:DWORD dst_unused:UNUSED_PAD src0_sel:BYTE_0 src1_sel:DWORD
	v_lshrrev_b16_e32 v25, 9, v25
	v_mul_lo_u16_e32 v26, 3, v25
	v_sub_u16_e32 v26, v7, v26
	v_mov_b32_e32 v33, 3
	v_lshlrev_b32_sdwa v28, v33, v26 dst_sel:DWORD dst_unused:UNUSED_PAD src0_sel:DWORD src1_sel:BYTE_0
	global_load_dwordx2 v[31:32], v28, s[12:13]
	v_lshrrev_b32_e32 v34, 16, v17
	s_waitcnt lgkmcnt(0)
	v_lshrrev_b32_e32 v35, 16, v30
	s_mov_b32 s3, 0xbaee
	v_lshrrev_b32_e32 v45, 16, v12
	s_waitcnt vmcnt(0)
	v_mul_f16_sdwa v28, v27, v31 dst_sel:DWORD dst_unused:UNUSED_PAD src0_sel:DWORD src1_sel:WORD_1
	v_fma_f16 v28, v16, v31, -v28
	v_mul_f16_sdwa v16, v16, v31 dst_sel:DWORD dst_unused:UNUSED_PAD src0_sel:DWORD src1_sel:WORD_1
	v_fma_f16 v16, v27, v31, v16
	v_mul_lo_u16_sdwa v27, v8, s2 dst_sel:DWORD dst_unused:UNUSED_PAD src0_sel:BYTE_0 src1_sel:DWORD
	v_mul_f16_sdwa v29, v34, v32 dst_sel:DWORD dst_unused:UNUSED_PAD src0_sel:DWORD src1_sel:WORD_1
	v_lshrrev_b16_e32 v27, 9, v27
	v_fma_f16 v29, v17, v32, -v29
	v_mul_f16_sdwa v17, v17, v32 dst_sel:DWORD dst_unused:UNUSED_PAD src0_sel:DWORD src1_sel:WORD_1
	v_mul_lo_u16_e32 v31, 3, v27
	v_fma_f16 v17, v34, v32, v17
	v_sub_u16_e32 v34, v8, v31
	v_lshlrev_b32_sdwa v31, v33, v34 dst_sel:DWORD dst_unused:UNUSED_PAD src0_sel:DWORD src1_sel:BYTE_0
	global_load_dwordx2 v[31:32], v31, s[12:13]
	v_mul_u32_u24_e32 v27, 36, v27
	s_waitcnt vmcnt(0)
	v_mul_f16_sdwa v36, v32, v35 dst_sel:DWORD dst_unused:UNUSED_PAD src0_sel:WORD_1 src1_sel:DWORD
	v_fma_f16 v36, v32, v30, -v36
	v_mul_f16_sdwa v30, v32, v30 dst_sel:DWORD dst_unused:UNUSED_PAD src0_sel:WORD_1 src1_sel:DWORD
	v_fma_f16 v32, v32, v35, v30
	v_lshrrev_b32_e32 v30, 16, v15
	v_mul_f16_sdwa v35, v31, v15 dst_sel:DWORD dst_unused:UNUSED_PAD src0_sel:WORD_1 src1_sel:DWORD
	v_fma_f16 v35, v31, v30, v35
	v_mul_f16_sdwa v30, v31, v30 dst_sel:DWORD dst_unused:UNUSED_PAD src0_sel:WORD_1 src1_sel:DWORD
	v_fma_f16 v37, v31, v15, -v30
	v_mul_lo_u16_sdwa v15, v9, s2 dst_sel:DWORD dst_unused:UNUSED_PAD src0_sel:BYTE_0 src1_sel:DWORD
	v_lshrrev_b16_e32 v38, 9, v15
	v_mul_lo_u16_e32 v15, 3, v38
	v_sub_u16_e32 v39, v9, v15
	v_lshlrev_b32_sdwa v15, v33, v39 dst_sel:DWORD dst_unused:UNUSED_PAD src0_sel:DWORD src1_sel:BYTE_0
	global_load_dwordx2 v[30:31], v15, s[12:13]
	v_lshrrev_b32_e32 v15, 16, v14
	s_waitcnt vmcnt(0)
	v_mul_f16_sdwa v40, v30, v15 dst_sel:DWORD dst_unused:UNUSED_PAD src0_sel:WORD_1 src1_sel:DWORD
	v_fma_f16 v40, v30, v14, -v40
	v_mul_f16_sdwa v14, v30, v14 dst_sel:DWORD dst_unused:UNUSED_PAD src0_sel:WORD_1 src1_sel:DWORD
	v_fma_f16 v30, v30, v15, v14
	v_lshrrev_b32_e32 v14, 16, v11
	v_mul_f16_sdwa v15, v31, v11 dst_sel:DWORD dst_unused:UNUSED_PAD src0_sel:WORD_1 src1_sel:DWORD
	v_fma_f16 v41, v31, v14, v15
	v_mul_f16_sdwa v14, v31, v14 dst_sel:DWORD dst_unused:UNUSED_PAD src0_sel:WORD_1 src1_sel:DWORD
	v_fma_f16 v31, v31, v11, -v14
	v_mul_lo_u16_sdwa v11, v5, s2 dst_sel:DWORD dst_unused:UNUSED_PAD src0_sel:BYTE_0 src1_sel:DWORD
	v_lshrrev_b16_e32 v42, 9, v11
	v_mul_lo_u16_e32 v11, 3, v42
	v_sub_u16_e32 v43, v5, v11
	v_lshlrev_b32_sdwa v11, v33, v43 dst_sel:DWORD dst_unused:UNUSED_PAD src0_sel:DWORD src1_sel:BYTE_0
	global_load_dwordx2 v[14:15], v11, s[12:13]
	v_lshrrev_b32_e32 v11, 16, v10
	s_movk_i32 s2, 0x3aee
	v_mul_u32_u24_e32 v42, 36, v42
	s_waitcnt lgkmcnt(0)
	; wave barrier
	s_waitcnt vmcnt(0)
	v_mul_f16_sdwa v33, v15, v11 dst_sel:DWORD dst_unused:UNUSED_PAD src0_sel:WORD_1 src1_sel:DWORD
	v_fma_f16 v33, v15, v10, -v33
	v_mul_f16_sdwa v10, v15, v10 dst_sel:DWORD dst_unused:UNUSED_PAD src0_sel:WORD_1 src1_sel:DWORD
	v_fma_f16 v15, v15, v11, v10
	v_lshrrev_b32_e32 v10, 16, v13
	v_mul_f16_sdwa v11, v14, v13 dst_sel:DWORD dst_unused:UNUSED_PAD src0_sel:WORD_1 src1_sel:DWORD
	v_fma_f16 v44, v14, v10, v11
	v_mul_f16_sdwa v10, v14, v10 dst_sel:DWORD dst_unused:UNUSED_PAD src0_sel:WORD_1 src1_sel:DWORD
	v_fma_f16 v14, v14, v13, -v10
	v_add_f16_e32 v10, v28, v29
	v_fma_f16 v11, v10, -0.5, v20
	v_sub_f16_e32 v13, v16, v17
	v_fma_f16 v10, v13, s2, v11
	v_fma_f16 v11, v13, s3, v11
	v_mov_b32_e32 v13, 2
	v_lshlrev_b32_sdwa v43, v13, v43 dst_sel:DWORD dst_unused:UNUSED_PAD src0_sel:DWORD src1_sel:BYTE_0
	v_add3_u32 v42, 0, v42, v43
	v_add_f16_e32 v43, v14, v33
	v_fma_f16 v43, v43, -0.5, v12
	v_add_f16_e32 v12, v12, v14
	v_sub_f16_e32 v14, v14, v33
	v_add_f16_e32 v12, v12, v33
	v_sub_f16_e32 v33, v44, v15
	v_add_f16_e32 v46, v45, v44
	v_add_f16_e32 v44, v44, v15
	;; [unrolled: 1-line block ×3, first 2 shown]
	v_fma_f16 v44, v44, -0.5, v45
	v_pack_b32_f16 v12, v12, v15
	v_fma_f16 v15, v33, s2, v43
	v_fma_f16 v45, v14, s3, v44
	v_pack_b32_f16 v15, v15, v45
	ds_write2_b32 v42, v12, v15 offset1:3
	v_fma_f16 v12, v33, s3, v43
	v_fma_f16 v14, v14, s2, v44
	v_pack_b32_f16 v12, v12, v14
	ds_write_b32 v42, v12 offset:24
	v_lshrrev_b32_e32 v12, 16, v23
	v_add_f16_e32 v14, v12, v30
	v_sub_f16_e32 v15, v30, v41
	v_add_f16_e32 v30, v30, v41
	v_fma_f16 v12, v30, -0.5, v12
	v_add_f16_e32 v30, v40, v31
	v_fma_f16 v30, v30, -0.5, v23
	v_add_f16_e32 v23, v23, v40
	v_add_f16_e32 v14, v14, v41
	;; [unrolled: 1-line block ×3, first 2 shown]
	v_sub_f16_e32 v31, v40, v31
	v_mul_u32_u24_e32 v33, 36, v38
	v_lshlrev_b32_sdwa v38, v13, v39 dst_sel:DWORD dst_unused:UNUSED_PAD src0_sel:DWORD src1_sel:BYTE_0
	v_add3_u32 v33, 0, v33, v38
	v_pack_b32_f16 v14, v23, v14
	v_fma_f16 v23, v15, s2, v30
	v_fma_f16 v38, v31, s3, v12
	v_pack_b32_f16 v23, v23, v38
	ds_write2_b32 v33, v14, v23 offset1:3
	v_fma_f16 v14, v15, s3, v30
	v_fma_f16 v12, v31, s2, v12
	v_pack_b32_f16 v12, v14, v12
	ds_write_b32 v33, v12 offset:24
	v_lshrrev_b32_e32 v12, 16, v22
	v_add_f16_e32 v23, v35, v32
	v_add_f16_e32 v14, v12, v35
	v_fma_f16 v23, v23, -0.5, v12
	v_add_f16_e32 v12, v37, v36
	v_fma_f16 v12, v12, -0.5, v22
	v_add_f16_e32 v22, v22, v37
	v_add_f16_e32 v14, v14, v32
	v_sub_f16_e32 v15, v35, v32
	v_add_f16_e32 v22, v22, v36
	v_sub_f16_e32 v30, v37, v36
	v_lshlrev_b32_sdwa v31, v13, v34 dst_sel:DWORD dst_unused:UNUSED_PAD src0_sel:DWORD src1_sel:BYTE_0
	v_add3_u32 v27, 0, v27, v31
	v_pack_b32_f16 v14, v22, v14
	v_fma_f16 v22, v15, s2, v12
	v_fma_f16 v31, v30, s3, v23
	v_pack_b32_f16 v22, v22, v31
	ds_write2_b32 v27, v14, v22 offset1:3
	v_fma_f16 v15, v15, s3, v12
	v_sub_u32_e32 v14, 0, v6
	v_fma_f16 v6, v30, s2, v23
	v_sub_u32_e32 v12, 0, v21
	v_add_f16_e32 v21, v16, v17
	v_pack_b32_f16 v6, v15, v6
	v_lshrrev_b32_e32 v15, 16, v20
	v_fma_f16 v21, v21, -0.5, v15
	v_sub_f16_e32 v22, v28, v29
	ds_write_b32 v27, v6 offset:24
	v_fma_f16 v6, v22, s3, v21
	v_fma_f16 v27, v22, s2, v21
	s_and_saveexec_b64 s[2:3], s[0:1]
	s_cbranch_execz .LBB0_19
; %bb.18:
	v_add_f16_e32 v15, v15, v16
	v_add_f16_e32 v16, v20, v28
	;; [unrolled: 1-line block ×4, first 2 shown]
	v_mul_u32_u24_e32 v17, 36, v25
	v_lshlrev_b32_sdwa v20, v13, v26 dst_sel:DWORD dst_unused:UNUSED_PAD src0_sel:DWORD src1_sel:BYTE_0
	s_mov_b32 s0, 0x5040100
	v_add3_u32 v17, 0, v17, v20
	v_pack_b32_f16 v15, v16, v15
	v_perm_b32 v16, v6, v10, s0
	ds_write2_b32 v17, v15, v16 offset1:3
	v_perm_b32 v15, v27, v11, s0
	ds_write_b32 v17, v15 offset:24
.LBB0_19:
	s_or_b64 exec, exec, s[2:3]
	v_mov_b32_e32 v15, 57
	v_mul_lo_u16_sdwa v16, v5, v15 dst_sel:DWORD dst_unused:UNUSED_PAD src0_sel:BYTE_0 src1_sel:DWORD
	v_lshrrev_b16_e32 v36, 9, v16
	v_mul_lo_u16_e32 v16, 9, v36
	v_sub_u16_e32 v37, v5, v16
	v_mov_b32_e32 v16, 4
	v_lshlrev_b32_sdwa v17, v16, v37 dst_sel:DWORD dst_unused:UNUSED_PAD src0_sel:DWORD src1_sel:BYTE_0
	s_waitcnt lgkmcnt(0)
	; wave barrier
	s_waitcnt lgkmcnt(0)
	global_load_dwordx4 v[20:23], v17, s[12:13] offset:24
	v_mul_lo_u16_sdwa v15, v9, v15 dst_sel:DWORD dst_unused:UNUSED_PAD src0_sel:BYTE_0 src1_sel:DWORD
	v_lshrrev_b16_e32 v38, 9, v15
	v_mul_lo_u16_e32 v15, 9, v38
	v_sub_u16_e32 v39, v9, v15
	v_lshlrev_b32_sdwa v15, v16, v39 dst_sel:DWORD dst_unused:UNUSED_PAD src0_sel:DWORD src1_sel:BYTE_0
	global_load_dwordx4 v[28:31], v15, s[12:13] offset:24
	v_add_u32_e32 v40, 0x200, v0
	ds_read2_b32 v[15:16], v0 offset1:189
	v_add_u32_e32 v25, v19, v12
	v_add_u32_e32 v12, 0x400, v0
	;; [unrolled: 1-line block ×4, first 2 shown]
	ds_read2_b32 v[17:18], v40 offset0:124 offset1:187
	ds_read_b32 v14, v25
	ds_read2_b32 v[32:33], v12 offset0:122 offset1:185
	ds_read2_b32 v[34:35], v19 offset0:120 offset1:183
	v_lshlrev_b32_sdwa v19, v13, v37 dst_sel:DWORD dst_unused:UNUSED_PAD src0_sel:DWORD src1_sel:BYTE_0
	v_lshlrev_b32_sdwa v13, v13, v39 dst_sel:DWORD dst_unused:UNUSED_PAD src0_sel:DWORD src1_sel:BYTE_0
	s_waitcnt lgkmcnt(2)
	v_lshrrev_b32_e32 v37, 16, v14
	v_lshrrev_b32_e32 v39, 16, v17
	s_waitcnt lgkmcnt(1)
	v_lshrrev_b32_e32 v41, 16, v32
	s_waitcnt lgkmcnt(0)
	v_lshrrev_b32_e32 v42, 16, v34
	s_movk_i32 s1, 0x3b9c
	s_mov_b32 s3, 0xbb9c
	s_movk_i32 s0, 0x38b4
	s_mov_b32 s6, 0xb8b4
	s_movk_i32 s2, 0x34f2
	s_waitcnt vmcnt(1)
	v_mul_f16_sdwa v43, v20, v37 dst_sel:DWORD dst_unused:UNUSED_PAD src0_sel:WORD_1 src1_sel:DWORD
	v_mul_f16_sdwa v44, v20, v14 dst_sel:DWORD dst_unused:UNUSED_PAD src0_sel:WORD_1 src1_sel:DWORD
	v_fma_f16 v14, v20, v14, -v43
	v_mul_f16_sdwa v43, v21, v17 dst_sel:DWORD dst_unused:UNUSED_PAD src0_sel:WORD_1 src1_sel:DWORD
	v_mul_f16_sdwa v45, v21, v39 dst_sel:DWORD dst_unused:UNUSED_PAD src0_sel:WORD_1 src1_sel:DWORD
	v_fma_f16 v39, v21, v39, v43
	v_mul_f16_sdwa v43, v22, v32 dst_sel:DWORD dst_unused:UNUSED_PAD src0_sel:WORD_1 src1_sel:DWORD
	v_fma_f16 v20, v20, v37, v44
	;; [unrolled: 2-line block ×4, first 2 shown]
	v_mul_f16_sdwa v42, v23, v42 dst_sel:DWORD dst_unused:UNUSED_PAD src0_sel:WORD_1 src1_sel:DWORD
	v_fma_f16 v17, v21, v17, -v45
	v_fma_f16 v21, v22, v32, -v37
	;; [unrolled: 1-line block ×3, first 2 shown]
	v_lshrrev_b32_e32 v23, 16, v18
	v_lshrrev_b32_e32 v32, 16, v33
	s_waitcnt vmcnt(0)
	v_mul_f16_sdwa v37, v23, v29 dst_sel:DWORD dst_unused:UNUSED_PAD src0_sel:DWORD src1_sel:WORD_1
	v_mul_f16_sdwa v42, v32, v30 dst_sel:DWORD dst_unused:UNUSED_PAD src0_sel:DWORD src1_sel:WORD_1
	v_lshrrev_b32_e32 v34, 16, v35
	v_fma_f16 v37, v18, v29, -v37
	v_mul_f16_sdwa v18, v18, v29 dst_sel:DWORD dst_unused:UNUSED_PAD src0_sel:DWORD src1_sel:WORD_1
	v_fma_f16 v42, v33, v30, -v42
	v_mul_f16_sdwa v33, v33, v30 dst_sel:DWORD dst_unused:UNUSED_PAD src0_sel:DWORD src1_sel:WORD_1
	v_mul_f16_sdwa v44, v34, v31 dst_sel:DWORD dst_unused:UNUSED_PAD src0_sel:DWORD src1_sel:WORD_1
	v_fma_f16 v18, v23, v29, v18
	v_lshrrev_b32_e32 v23, 16, v16
	v_fma_f16 v29, v32, v30, v33
	v_mul_f16_sdwa v30, v28, v16 dst_sel:DWORD dst_unused:UNUSED_PAD src0_sel:WORD_1 src1_sel:DWORD
	v_fma_f16 v44, v35, v31, -v44
	v_mul_f16_sdwa v35, v35, v31 dst_sel:DWORD dst_unused:UNUSED_PAD src0_sel:DWORD src1_sel:WORD_1
	v_fma_f16 v32, v28, v23, v30
	v_mul_f16_sdwa v23, v28, v23 dst_sel:DWORD dst_unused:UNUSED_PAD src0_sel:WORD_1 src1_sel:DWORD
	v_fma_f16 v16, v28, v16, -v23
	v_fma_f16 v23, v34, v31, v35
	v_add_f16_e32 v30, v17, v21
	v_add_f16_e32 v34, v14, v22
	v_lshrrev_b32_e32 v45, 16, v15
	v_add_f16_e32 v28, v15, v14
	v_sub_f16_e32 v33, v14, v17
	v_fma_f16 v30, v30, -0.5, v15
	v_fma_f16 v15, v34, -0.5, v15
	v_sub_f16_e32 v34, v22, v21
	v_sub_f16_e32 v31, v20, v43
	;; [unrolled: 1-line block ×3, first 2 shown]
	v_add_f16_e32 v33, v33, v34
	v_sub_f16_e32 v34, v21, v22
	v_add_f16_e32 v34, v35, v34
	v_fma_f16 v35, v31, s1, v30
	v_fma_f16 v30, v31, s3, v30
	v_sub_f16_e32 v46, v39, v41
	v_fma_f16 v35, v46, s0, v35
	v_fma_f16 v30, v46, s6, v30
	;; [unrolled: 1-line block ×8, first 2 shown]
	v_add_f16_e32 v28, v28, v17
	v_add_f16_e32 v28, v28, v21
	v_fma_f16 v47, v34, s2, v30
	v_fma_f16 v34, v34, s2, v15
	v_add_f16_e32 v15, v39, v41
	v_add_f16_e32 v46, v28, v22
	v_fma_f16 v15, v15, -0.5, v45
	v_sub_f16_e32 v14, v14, v22
	v_sub_f16_e32 v17, v17, v21
	v_sub_f16_e32 v21, v20, v39
	v_sub_f16_e32 v22, v43, v41
	v_add_f16_e32 v21, v21, v22
	v_fma_f16 v22, v14, s3, v15
	v_fma_f16 v15, v14, s1, v15
	;; [unrolled: 1-line block ×4, first 2 shown]
	v_add_f16_e32 v28, v45, v20
	ds_read_b32 v31, v26
	v_fma_f16 v22, v21, s2, v22
	v_fma_f16 v21, v21, s2, v15
	v_add_f16_e32 v15, v20, v43
	v_add_f16_e32 v28, v28, v39
	v_fma_f16 v15, v15, -0.5, v45
	v_add_f16_e32 v28, v28, v41
	v_add_f16_e32 v45, v28, v43
	v_sub_f16_e32 v20, v39, v20
	v_fma_f16 v28, v17, s1, v15
	v_sub_f16_e32 v30, v41, v43
	v_fma_f16 v15, v17, s3, v15
	v_fma_f16 v28, v14, s6, v28
	v_add_f16_e32 v20, v20, v30
	v_fma_f16 v14, v14, s0, v15
	v_fma_f16 v39, v20, s2, v28
	;; [unrolled: 1-line block ×3, first 2 shown]
	v_add_f16_e32 v14, v37, v42
	v_sub_f16_e32 v20, v16, v37
	v_sub_f16_e32 v28, v44, v42
	s_waitcnt lgkmcnt(0)
	v_fma_f16 v14, v14, -0.5, v31
	v_sub_f16_e32 v15, v32, v23
	v_add_f16_e32 v20, v20, v28
	v_sub_f16_e32 v28, v37, v16
	v_sub_f16_e32 v30, v42, v44
	v_add_f16_e32 v43, v16, v44
	v_add_f16_e32 v28, v28, v30
	v_fma_f16 v30, v15, s1, v14
	v_sub_f16_e32 v41, v18, v29
	v_fma_f16 v43, v43, -0.5, v31
	v_fma_f16 v30, v41, s0, v30
	v_fma_f16 v14, v15, s3, v14
	v_fma_f16 v48, v41, s3, v43
	v_fma_f16 v14, v41, s6, v14
	v_fma_f16 v41, v41, s1, v43
	v_fma_f16 v43, v15, s0, v48
	v_fma_f16 v48, v20, s2, v30
	v_add_f16_e32 v30, v31, v16
	v_add_f16_e32 v30, v30, v37
	v_fma_f16 v41, v15, s6, v41
	v_add_f16_e32 v30, v30, v42
	v_fma_f16 v15, v20, s2, v14
	v_fma_f16 v14, v28, s2, v41
	v_lshrrev_b32_e32 v20, 16, v31
	v_add_f16_e32 v41, v30, v44
	v_sub_f16_e32 v31, v37, v42
	v_sub_f16_e32 v30, v32, v18
	;; [unrolled: 1-line block ×3, first 2 shown]
	v_add_f16_e32 v30, v30, v37
	v_add_f16_e32 v37, v18, v29
	v_sub_f16_e32 v16, v16, v44
	v_fma_f16 v37, v37, -0.5, v20
	v_fma_f16 v42, v16, s3, v37
	v_fma_f16 v37, v16, s1, v37
	;; [unrolled: 1-line block ×6, first 2 shown]
	v_add_f16_e32 v37, v32, v23
	v_fma_f16 v37, v37, -0.5, v20
	v_add_f16_e32 v20, v20, v32
	v_add_f16_e32 v20, v20, v18
	;; [unrolled: 1-line block ×3, first 2 shown]
	v_sub_f16_e32 v18, v18, v32
	v_add_f16_e32 v20, v20, v23
	v_sub_f16_e32 v23, v29, v23
	v_fma_f16 v29, v31, s1, v37
	v_add_f16_e32 v18, v18, v23
	v_fma_f16 v23, v31, s3, v37
	v_fma_f16 v29, v16, s6, v29
	v_fma_f16 v16, v16, s0, v23
	v_fma_f16 v31, v18, s2, v16
	v_mul_u32_u24_e32 v16, 0xb4, v36
	v_fma_f16 v29, v18, s2, v29
	v_add3_u32 v16, 0, v16, v19
	v_pack_b32_f16 v18, v46, v45
	v_pack_b32_f16 v19, v35, v22
	s_waitcnt lgkmcnt(0)
	; wave barrier
	ds_write2_b32 v16, v18, v19 offset1:9
	v_pack_b32_f16 v18, v47, v39
	v_pack_b32_f16 v17, v34, v17
	ds_write2_b32 v16, v18, v17 offset0:18 offset1:27
	v_pack_b32_f16 v17, v33, v21
	ds_write_b32 v16, v17 offset:144
	v_mul_u32_u24_e32 v16, 0xb4, v38
	v_fma_f16 v28, v28, s2, v43
	v_add3_u32 v13, 0, v16, v13
	v_pack_b32_f16 v16, v41, v20
	v_pack_b32_f16 v17, v48, v42
	ds_write2_b32 v13, v16, v17 offset1:9
	v_pack_b32_f16 v16, v28, v29
	v_pack_b32_f16 v17, v14, v31
	ds_write2_b32 v13, v16, v17 offset0:18 offset1:27
	v_pack_b32_f16 v16, v15, v30
	ds_write_b32 v13, v16 offset:144
	s_waitcnt lgkmcnt(0)
	; wave barrier
	s_waitcnt lgkmcnt(0)
	ds_read2_b32 v[18:19], v0 offset1:90
	ds_read2_b32 v[22:23], v40 offset0:52 offset1:142
	ds_read2_b32 v[20:21], v12 offset0:104 offset1:194
	ds_read_b32 v34, v0 offset:2160
	v_cmp_gt_u32_e64 s[0:1], 27, v5
                                        ; implicit-def: $vgpr33
                                        ; implicit-def: $vgpr17
                                        ; implicit-def: $vgpr32
	s_and_saveexec_b64 s[2:3], s[0:1]
	s_cbranch_execz .LBB0_21
; %bb.20:
	v_add_u32_e32 v6, 0x800, v0
	ds_read_b32 v28, v26
	ds_read_u16 v30, v0 offset:974
	ds_read2_b32 v[10:11], v12 offset0:77 offset1:167
	ds_read2_b32 v[16:17], v6 offset0:1 offset1:91
	ds_read2_b32 v[14:15], v0 offset0:153 offset1:243
	s_waitcnt lgkmcnt(4)
	v_lshrrev_b32_e32 v29, 16, v28
	s_waitcnt lgkmcnt(2)
	v_lshrrev_b32_e32 v6, 16, v10
	v_lshrrev_b32_e32 v27, 16, v11
	s_waitcnt lgkmcnt(1)
	v_lshrrev_b32_e32 v32, 16, v16
	;; [unrolled: 3-line block ×3, first 2 shown]
.LBB0_21:
	s_or_b64 exec, exec, s[2:3]
	v_subrev_u32_e32 v12, 45, v5
	v_cmp_gt_u32_e64 s[2:3], 45, v5
	v_cndmask_b32_e64 v43, v12, v5, s[2:3]
	v_mul_i32_i24_e32 v12, 6, v43
	v_mov_b32_e32 v13, 0
	v_lshlrev_b64 v[35:36], 2, v[12:13]
	v_mov_b32_e32 v12, s13
	v_add_co_u32_e64 v39, s[2:3], s12, v35
	v_addc_co_u32_e64 v40, s[2:3], v12, v36, s[2:3]
	global_load_dwordx4 v[35:38], v[39:40], off offset:168
	global_load_dwordx2 v[41:42], v[39:40], off offset:184
	s_waitcnt lgkmcnt(3)
	v_lshrrev_b32_e32 v12, 16, v19
	s_waitcnt lgkmcnt(2)
	v_lshrrev_b32_e32 v39, 16, v22
	v_lshrrev_b32_e32 v40, 16, v23
	s_waitcnt lgkmcnt(1)
	v_lshrrev_b32_e32 v44, 16, v20
	;; [unrolled: 3-line block ×3, first 2 shown]
	s_movk_i32 s9, 0x2b26
	s_movk_i32 s6, 0x3b00
	s_mov_b32 s8, 0xbcab
	s_movk_i32 s7, 0x39e0
	s_mov_b32 s15, 0xb9e0
	s_movk_i32 s16, 0x3574
	s_mov_b32 s17, 0xb574
	s_movk_i32 s14, 0x370e
	v_cmp_lt_u32_e64 s[2:3], 44, v5
	s_waitcnt lgkmcnt(0)
	; wave barrier
	s_waitcnt vmcnt(1)
	v_mul_f16_sdwa v47, v35, v12 dst_sel:DWORD dst_unused:UNUSED_PAD src0_sel:WORD_1 src1_sel:DWORD
	v_mul_f16_sdwa v48, v35, v19 dst_sel:DWORD dst_unused:UNUSED_PAD src0_sel:WORD_1 src1_sel:DWORD
	;; [unrolled: 1-line block ×8, first 2 shown]
	s_waitcnt vmcnt(0)
	v_mul_f16_sdwa v55, v41, v45 dst_sel:DWORD dst_unused:UNUSED_PAD src0_sel:WORD_1 src1_sel:DWORD
	v_mul_f16_sdwa v56, v41, v21 dst_sel:DWORD dst_unused:UNUSED_PAD src0_sel:WORD_1 src1_sel:DWORD
	;; [unrolled: 1-line block ×4, first 2 shown]
	v_fma_f16 v19, v35, v19, -v47
	v_fma_f16 v12, v35, v12, v48
	v_fma_f16 v22, v36, v22, -v49
	v_fma_f16 v35, v36, v39, v50
	;; [unrolled: 2-line block ×6, first 2 shown]
	v_add_f16_e32 v40, v19, v34
	v_add_f16_e32 v41, v12, v39
	v_sub_f16_e32 v19, v19, v34
	v_sub_f16_e32 v12, v12, v39
	v_add_f16_e32 v34, v22, v21
	v_add_f16_e32 v39, v35, v38
	v_sub_f16_e32 v21, v22, v21
	v_sub_f16_e32 v22, v35, v38
	;; [unrolled: 4-line block ×4, first 2 shown]
	v_sub_f16_e32 v40, v40, v35
	v_sub_f16_e32 v41, v41, v38
	;; [unrolled: 1-line block ×4, first 2 shown]
	v_add_f16_e32 v45, v20, v21
	v_sub_f16_e32 v47, v20, v21
	v_sub_f16_e32 v21, v21, v19
	v_add_f16_e32 v35, v35, v36
	v_add_f16_e32 v36, v38, v37
	;; [unrolled: 1-line block ×3, first 2 shown]
	v_sub_f16_e32 v48, v23, v22
	v_sub_f16_e32 v20, v19, v20
	;; [unrolled: 1-line block ×3, first 2 shown]
	v_add_f16_e32 v19, v45, v19
	v_mul_f16_e32 v37, 0x3a52, v40
	v_mul_f16_e32 v38, 0x3a52, v41
	v_mul_f16_e32 v40, 0x2b26, v34
	v_mul_f16_e32 v41, 0x2b26, v39
	v_mul_f16_e32 v45, 0xb846, v47
	v_mul_f16_e32 v47, 0x3b00, v21
	v_add_f16_e32 v49, v35, v18
	v_add_f16_sdwa v18, v36, v18 dst_sel:DWORD dst_unused:UNUSED_PAD src0_sel:DWORD src1_sel:WORD_1
	v_sub_f16_e32 v23, v12, v23
	v_add_f16_e32 v12, v46, v12
	v_mul_f16_e32 v46, 0xb846, v48
	v_mul_f16_e32 v48, 0x3b00, v22
	v_fma_f16 v34, v34, s9, v37
	v_fma_f16 v39, v39, s9, v38
	;; [unrolled: 1-line block ×4, first 2 shown]
	v_fma_f16 v40, v42, s7, -v40
	v_fma_f16 v41, v44, s7, -v41
	;; [unrolled: 1-line block ×4, first 2 shown]
	v_fma_f16 v42, v20, s16, v45
	v_fma_f16 v21, v21, s6, -v45
	v_fma_f16 v20, v20, s17, -v47
	v_fma_f16 v44, v23, s16, v46
	v_fma_f16 v22, v22, s6, -v46
	v_fma_f16 v23, v23, s17, -v48
	v_add_f16_e32 v34, v34, v35
	v_add_f16_e32 v39, v39, v36
	;; [unrolled: 1-line block ×6, first 2 shown]
	v_fma_f16 v37, v19, s14, v42
	v_fma_f16 v21, v19, s14, v21
	;; [unrolled: 1-line block ×6, first 2 shown]
	v_sub_f16_e32 v44, v36, v19
	v_add_f16_e32 v19, v19, v36
	v_mov_b32_e32 v36, 0x4ec
	v_add_f16_e32 v20, v38, v34
	v_sub_f16_e32 v23, v39, v37
	v_add_f16_e32 v42, v12, v35
	v_sub_f16_e32 v12, v35, v12
	v_add_f16_e32 v35, v37, v39
	v_cndmask_b32_e64 v36, 0, v36, s[2:3]
	v_lshlrev_b32_e32 v37, 2, v43
	v_sub_f16_e32 v45, v40, v22
	v_add_f16_e32 v46, v21, v41
	v_add3_u32 v36, 0, v36, v37
	v_pack_b32_f16 v18, v49, v18
	v_pack_b32_f16 v20, v20, v23
	v_add_f16_e32 v22, v22, v40
	v_sub_f16_e32 v21, v41, v21
	ds_write2_b32 v36, v18, v20 offset1:45
	v_pack_b32_f16 v18, v42, v44
	v_pack_b32_f16 v20, v45, v46
	v_sub_f16_e32 v34, v34, v38
	ds_write2_b32 v36, v18, v20 offset0:90 offset1:135
	v_pack_b32_f16 v18, v22, v21
	v_pack_b32_f16 v12, v12, v19
	ds_write2_b32 v36, v18, v12 offset0:180 offset1:225
	v_pack_b32_f16 v12, v34, v35
	ds_write_b32 v36, v12 offset:1080
	s_and_saveexec_b64 s[2:3], s[0:1]
	s_cbranch_execz .LBB0_23
; %bb.22:
	s_movk_i32 s0, 0x6d
	v_mul_lo_u16_sdwa v12, v9, s0 dst_sel:DWORD dst_unused:UNUSED_PAD src0_sel:BYTE_0 src1_sel:DWORD
	v_sub_u16_sdwa v18, v9, v12 dst_sel:DWORD dst_unused:UNUSED_PAD src0_sel:DWORD src1_sel:BYTE_1
	v_lshrrev_b16_e32 v18, 1, v18
	v_and_b32_e32 v18, 0x7f, v18
	v_add_u16_sdwa v12, v18, v12 dst_sel:DWORD dst_unused:UNUSED_PAD src0_sel:DWORD src1_sel:BYTE_1
	v_lshrrev_b16_e32 v12, 5, v12
	v_mul_lo_u16_e32 v12, 45, v12
	v_sub_u16_e32 v12, v9, v12
	v_and_b32_e32 v12, 0xff, v12
	v_mul_u32_u24_e32 v18, 6, v12
	v_lshlrev_b32_e32 v34, 2, v18
	global_load_dwordx4 v[18:21], v34, s[12:13] offset:168
	global_load_dwordx2 v[22:23], v34, s[12:13] offset:184
	v_lshl_add_u32 v12, v12, 2, 0
	s_waitcnt vmcnt(1)
	v_mul_f16_sdwa v34, v31, v18 dst_sel:DWORD dst_unused:UNUSED_PAD src0_sel:DWORD src1_sel:WORD_1
	s_waitcnt vmcnt(0)
	v_mul_f16_sdwa v35, v33, v23 dst_sel:DWORD dst_unused:UNUSED_PAD src0_sel:DWORD src1_sel:WORD_1
	v_mul_f16_sdwa v36, v27, v21 dst_sel:DWORD dst_unused:UNUSED_PAD src0_sel:DWORD src1_sel:WORD_1
	;; [unrolled: 1-line block ×11, first 2 shown]
	v_fma_f16 v14, v14, v18, -v34
	v_fma_f16 v17, v17, v23, -v35
	;; [unrolled: 1-line block ×6, first 2 shown]
	v_fma_f16 v23, v33, v23, v40
	v_fma_f16 v18, v31, v18, v41
	;; [unrolled: 1-line block ×6, first 2 shown]
	v_sub_f16_e32 v22, v14, v17
	v_sub_f16_e32 v27, v11, v10
	;; [unrolled: 1-line block ×3, first 2 shown]
	v_add_f16_e32 v31, v18, v23
	v_add_f16_e32 v33, v19, v21
	v_add_f16_e32 v14, v14, v17
	v_add_f16_e32 v10, v10, v11
	v_add_f16_e32 v11, v15, v16
	v_add_f16_e32 v32, v6, v20
	v_sub_f16_e32 v15, v18, v23
	v_sub_f16_e32 v6, v20, v6
	;; [unrolled: 1-line block ×4, first 2 shown]
	v_add_f16_e32 v19, v27, v30
	v_add_f16_e32 v23, v33, v31
	;; [unrolled: 1-line block ×3, first 2 shown]
	v_sub_f16_e32 v17, v22, v27
	v_sub_f16_e32 v20, v31, v32
	;; [unrolled: 1-line block ×7, first 2 shown]
	v_add_f16_e32 v6, v6, v16
	v_sub_f16_e32 v30, v30, v22
	v_sub_f16_e32 v11, v11, v14
	;; [unrolled: 1-line block ×3, first 2 shown]
	v_mul_f16_e32 v16, 0xb846, v18
	v_add_f16_e32 v18, v19, v22
	v_add_f16_e32 v22, v32, v23
	;; [unrolled: 1-line block ×3, first 2 shown]
	v_sub_f16_e32 v31, v33, v31
	v_mul_f16_e32 v19, 0x3a52, v20
	v_mul_f16_e32 v20, 0x2b26, v21
	;; [unrolled: 1-line block ×5, first 2 shown]
	v_add_f16_e32 v6, v6, v15
	v_mul_f16_e32 v15, 0x3b00, v30
	v_mul_f16_e32 v33, 0x3b00, v14
	v_add_f16_e32 v29, v29, v22
	v_add_f16_e32 v28, v28, v10
	v_fma_f16 v35, v17, s16, v16
	v_fma_f16 v21, v21, s9, v19
	;; [unrolled: 1-line block ×4, first 2 shown]
	v_fma_f16 v15, v17, s17, -v15
	v_fma_f16 v17, v31, s15, -v19
	;; [unrolled: 1-line block ×4, first 2 shown]
	v_fma_f16 v22, v22, s8, v29
	v_fma_f16 v10, v10, s8, v28
	v_fma_f16 v20, v31, s7, -v20
	v_fma_f16 v16, v30, s6, -v16
	;; [unrolled: 1-line block ×4, first 2 shown]
	v_fma_f16 v33, v18, s14, v35
	v_fma_f16 v35, v6, s14, v37
	;; [unrolled: 1-line block ×4, first 2 shown]
	v_add_f16_e32 v21, v21, v22
	v_add_f16_e32 v34, v34, v10
	;; [unrolled: 1-line block ×5, first 2 shown]
	v_fma_f16 v16, v18, s14, v16
	v_fma_f16 v6, v6, s14, v14
	v_add_f16_e32 v10, v11, v10
	v_add_f16_e32 v38, v15, v17
	v_sub_f16_e32 v18, v20, v16
	v_add_f16_e32 v11, v6, v10
	v_add_f16_e32 v14, v16, v20
	v_sub_f16_e32 v6, v10, v6
	v_sub_f16_e32 v10, v17, v15
	v_add_f16_e32 v15, v23, v19
	v_sub_f16_e32 v16, v21, v33
	v_add_f16_e32 v17, v35, v34
	v_sub_f16_e32 v39, v19, v23
	v_pack_b32_f16 v16, v17, v16
	v_add_u32_e32 v17, 0x400, v12
	v_pack_b32_f16 v10, v15, v10
	v_pack_b32_f16 v6, v6, v14
	v_add_f16_e32 v36, v33, v21
	v_sub_f16_e32 v37, v34, v35
	ds_write2_b32 v17, v10, v6 offset0:149 offset1:194
	v_pack_b32_f16 v6, v11, v18
	v_pack_b32_f16 v10, v39, v38
	v_add_u32_e32 v11, 0x600, v12
	v_pack_b32_f16 v19, v28, v29
	ds_write2_b32 v11, v6, v10 offset0:111 offset1:156
	v_pack_b32_f16 v6, v37, v36
	ds_write2_b32 v17, v19, v16 offset0:59 offset1:104
	ds_write_b32 v12, v6 offset:2340
.LBB0_23:
	s_or_b64 exec, exec, s[2:3]
	v_mov_b32_e32 v6, v13
	v_lshlrev_b64 v[11:12], 2, v[5:6]
	v_mov_b32_e32 v10, v13
	v_mov_b32_e32 v18, s13
	v_add_co_u32_e64 v16, s[0:1], s12, v11
	v_lshlrev_b64 v[9:10], 2, v[9:10]
	v_addc_co_u32_e64 v17, s[0:1], v18, v12, s[0:1]
	v_add_co_u32_e64 v14, s[0:1], s12, v9
	v_mov_b32_e32 v9, v13
	v_addc_co_u32_e64 v15, s[0:1], v18, v10, s[0:1]
	v_lshlrev_b64 v[9:10], 2, v[8:9]
	v_mov_b32_e32 v8, v13
	v_add_co_u32_e64 v9, s[0:1], s12, v9
	v_lshlrev_b64 v[6:7], 2, v[7:8]
	v_addc_co_u32_e64 v10, s[0:1], v18, v10, s[0:1]
	v_add_co_u32_e64 v6, s[0:1], s12, v6
	s_waitcnt lgkmcnt(0)
	; wave barrier
	s_waitcnt lgkmcnt(0)
	v_addc_co_u32_e64 v7, s[0:1], v18, v7, s[0:1]
	global_load_dword v8, v[16:17], off offset:1248
	global_load_dword v13, v[16:17], off offset:2256
	;; [unrolled: 1-line block ×5, first 2 shown]
	v_add_u32_e32 v22, 0x400, v0
	ds_read2_b32 v[18:19], v0 offset1:252
	ds_read_b32 v30, v24
	ds_read_b32 v31, v26
	;; [unrolled: 1-line block ×3, first 2 shown]
	ds_read_b32 v33, v0 offset:2268
	ds_read2_b32 v[20:21], v22 offset0:59 offset1:122
	ds_read2_b32 v[22:23], v22 offset0:185 offset1:248
	s_mov_b32 s2, 0xffff
	s_waitcnt lgkmcnt(0)
	; wave barrier
	s_waitcnt lgkmcnt(0)
	v_cmp_ne_u32_e64 s[0:1], 0, v5
	s_waitcnt vmcnt(4)
	v_pk_mul_f16 v34, v8, v20 op_sel:[0,1]
	s_waitcnt vmcnt(3)
	v_pk_mul_f16 v35, v13, v33 op_sel:[0,1]
	s_waitcnt vmcnt(2)
	v_pk_mul_f16 v36, v27, v23 op_sel:[0,1]
	s_waitcnt vmcnt(1)
	v_pk_mul_f16 v37, v28, v22 op_sel:[0,1]
	s_waitcnt vmcnt(0)
	v_pk_mul_f16 v38, v29, v21 op_sel:[0,1]
	v_pk_fma_f16 v39, v8, v20, v34 op_sel:[0,0,1] op_sel_hi:[1,1,0] neg_lo:[0,0,1] neg_hi:[0,0,1]
	v_pk_fma_f16 v8, v8, v20, v34 op_sel:[0,0,1] op_sel_hi:[1,0,0]
	v_pk_fma_f16 v20, v13, v33, v35 op_sel:[0,0,1] op_sel_hi:[1,1,0] neg_lo:[0,0,1] neg_hi:[0,0,1]
	v_pk_fma_f16 v13, v13, v33, v35 op_sel:[0,0,1] op_sel_hi:[1,0,0]
	v_pk_fma_f16 v33, v27, v23, v36 op_sel:[0,0,1] op_sel_hi:[1,1,0] neg_lo:[0,0,1] neg_hi:[0,0,1]
	v_pk_fma_f16 v23, v27, v23, v36 op_sel:[0,0,1] op_sel_hi:[1,0,0]
	v_pk_fma_f16 v27, v28, v22, v37 op_sel:[0,0,1] op_sel_hi:[1,1,0] neg_lo:[0,0,1] neg_hi:[0,0,1]
	v_pk_fma_f16 v22, v28, v22, v37 op_sel:[0,0,1] op_sel_hi:[1,0,0]
	v_pk_fma_f16 v28, v29, v21, v38 op_sel:[0,0,1] op_sel_hi:[1,1,0] neg_lo:[0,0,1] neg_hi:[0,0,1]
	v_pk_fma_f16 v21, v29, v21, v38 op_sel:[0,0,1] op_sel_hi:[1,0,0]
	v_bfi_b32 v8, s2, v39, v8
	v_bfi_b32 v13, s2, v20, v13
	;; [unrolled: 1-line block ×5, first 2 shown]
	v_pk_add_f16 v8, v18, v8 neg_lo:[0,1] neg_hi:[0,1]
	v_pk_add_f16 v13, v19, v13 neg_lo:[0,1] neg_hi:[0,1]
	;; [unrolled: 1-line block ×5, first 2 shown]
	v_pk_fma_f16 v18, v18, 2.0, v8 op_sel_hi:[1,0,1] neg_lo:[0,0,1] neg_hi:[0,0,1]
	v_pk_fma_f16 v19, v19, 2.0, v13 op_sel_hi:[1,0,1] neg_lo:[0,0,1] neg_hi:[0,0,1]
	;; [unrolled: 1-line block ×5, first 2 shown]
	ds_write_b32 v0, v8 offset:1260
	ds_write_b32 v0, v18
	ds_write_b32 v26, v28
	ds_write_b32 v26, v21 offset:1260
	ds_write_b32 v25, v27
	ds_write_b32 v25, v22 offset:1260
	;; [unrolled: 2-line block ×3, first 2 shown]
	ds_write_b32 v0, v19 offset:1008
	ds_write_b32 v0, v13 offset:2268
	s_waitcnt lgkmcnt(0)
	; wave barrier
	s_waitcnt lgkmcnt(0)
	ds_read_b32 v20, v0
	v_lshlrev_b32_e32 v8, 2, v5
	v_sub_u32_e32 v8, 0, v8
                                        ; implicit-def: $vgpr19
                                        ; implicit-def: $vgpr13
                                        ; implicit-def: $vgpr18
	s_and_saveexec_b64 s[6:7], s[0:1]
	s_xor_b64 s[0:1], exec, s[6:7]
	s_cbranch_execz .LBB0_25
; %bb.24:
	global_load_dword v13, v[16:17], off offset:2508
	ds_read_b32 v16, v8 offset:2520
	s_waitcnt lgkmcnt(0)
	v_pk_add_f16 v17, v20, v16 neg_lo:[0,1] neg_hi:[0,1]
	v_pk_add_f16 v16, v16, v20
	v_bfi_b32 v18, s2, v17, v16
	v_bfi_b32 v16, s2, v16, v17
	v_pk_mul_f16 v17, v18, 0.5 op_sel_hi:[1,0]
	v_pk_mul_f16 v18, v16, 0.5 op_sel_hi:[1,0]
	s_waitcnt vmcnt(0)
	v_pk_mul_f16 v19, v13, v17 op_sel:[1,0]
	v_pk_mul_f16 v17, v13, v17 op_sel_hi:[0,1]
	v_pk_fma_f16 v13, v16, 0.5, v19 op_sel_hi:[1,0,1]
	v_sub_f16_e32 v16, v18, v19
	v_sub_f16_sdwa v18, v19, v18 dst_sel:DWORD dst_unused:UNUSED_PAD src0_sel:WORD_1 src1_sel:WORD_1
	v_pk_add_f16 v19, v13, v17 op_sel:[0,1] op_sel_hi:[1,0]
	v_pk_add_f16 v20, v13, v17 op_sel:[0,1] op_sel_hi:[1,0] neg_lo:[0,1] neg_hi:[0,1]
	v_sub_f16_sdwa v13, v16, v17 dst_sel:DWORD dst_unused:UNUSED_PAD src0_sel:DWORD src1_sel:WORD_1
	v_bfi_b32 v19, s2, v19, v20
	v_sub_f16_e32 v18, v18, v17
                                        ; implicit-def: $vgpr20
.LBB0_25:
	s_andn2_saveexec_b64 s[0:1], s[0:1]
	s_cbranch_execz .LBB0_27
; %bb.26:
	v_mov_b32_e32 v18, 0
	ds_read_u16 v16, v18 offset:1262
	s_waitcnt lgkmcnt(1)
	v_alignbit_b32 v17, s0, v20, 16
	v_pk_add_f16 v17, v17, v20
	v_sub_f16_sdwa v13, v20, v20 dst_sel:DWORD dst_unused:UNUSED_PAD src0_sel:DWORD src1_sel:WORD_1
	v_pack_b32_f16 v19, v17, 0
	s_waitcnt lgkmcnt(0)
	v_xor_b32_e32 v16, 0x8000, v16
	ds_write_b16 v18, v16 offset:1262
.LBB0_27:
	s_or_b64 exec, exec, s[0:1]
	global_load_dword v16, v[14:15], off offset:2508
	global_load_dword v17, v[9:10], off offset:2508
	s_waitcnt lgkmcnt(0)
	global_load_dword v20, v[6:7], off offset:2508
	s_add_u32 s0, s12, 0x9cc
	s_addc_u32 s1, s13, 0
	v_mov_b32_e32 v7, s1
	v_add_co_u32_e64 v6, s[0:1], s0, v11
	ds_write_b16 v8, v18 offset:2522
	ds_write_b32 v0, v19
	ds_write_b16 v8, v13 offset:2520
	v_addc_co_u32_e64 v7, s[0:1], v7, v12, s[0:1]
	ds_read_b32 v9, v26
	ds_read_b32 v10, v8 offset:2268
	global_load_dword v6, v[6:7], off offset:1008
	s_mov_b32 s0, 0xffff
	s_waitcnt lgkmcnt(0)
	v_pk_add_f16 v7, v9, v10 neg_lo:[0,1] neg_hi:[0,1]
	v_pk_add_f16 v9, v9, v10
	v_bfi_b32 v10, s0, v7, v9
	v_bfi_b32 v7, s0, v9, v7
	v_pk_mul_f16 v9, v10, 0.5 op_sel_hi:[1,0]
	v_pk_mul_f16 v7, v7, 0.5 op_sel_hi:[1,0]
	s_waitcnt vmcnt(3)
	v_pk_fma_f16 v10, v16, v9, v7 op_sel:[1,0,0]
	v_pk_mul_f16 v11, v16, v9 op_sel_hi:[0,1]
	v_pk_fma_f16 v12, v16, v9, v7 op_sel:[1,0,0] neg_lo:[1,0,0] neg_hi:[1,0,0]
	v_pk_fma_f16 v7, v16, v9, v7 op_sel:[1,0,0] neg_lo:[0,0,1] neg_hi:[0,0,1]
	v_pk_add_f16 v9, v10, v11 op_sel:[0,1] op_sel_hi:[1,0]
	v_pk_add_f16 v10, v10, v11 op_sel:[0,1] op_sel_hi:[1,0] neg_lo:[0,1] neg_hi:[0,1]
	v_pk_add_f16 v12, v12, v11 op_sel:[0,1] op_sel_hi:[1,0] neg_lo:[0,1] neg_hi:[0,1]
	;; [unrolled: 1-line block ×3, first 2 shown]
	v_bfi_b32 v9, s0, v9, v10
	v_bfi_b32 v7, s0, v12, v7
	ds_write_b32 v26, v9
	ds_write_b32 v8, v7 offset:2268
	ds_read_b32 v7, v25
	ds_read_b32 v9, v8 offset:2016
	s_waitcnt lgkmcnt(0)
	v_pk_add_f16 v10, v7, v9 neg_lo:[0,1] neg_hi:[0,1]
	v_pk_add_f16 v7, v7, v9
	v_bfi_b32 v9, s0, v10, v7
	v_bfi_b32 v7, s0, v7, v10
	v_pk_mul_f16 v9, v9, 0.5 op_sel_hi:[1,0]
	v_pk_mul_f16 v7, v7, 0.5 op_sel_hi:[1,0]
	s_waitcnt vmcnt(2)
	v_pk_fma_f16 v10, v17, v9, v7 op_sel:[1,0,0]
	v_pk_mul_f16 v11, v17, v9 op_sel_hi:[0,1]
	v_pk_fma_f16 v12, v17, v9, v7 op_sel:[1,0,0] neg_lo:[1,0,0] neg_hi:[1,0,0]
	v_pk_fma_f16 v7, v17, v9, v7 op_sel:[1,0,0] neg_lo:[0,0,1] neg_hi:[0,0,1]
	v_pk_add_f16 v9, v10, v11 op_sel:[0,1] op_sel_hi:[1,0]
	v_pk_add_f16 v10, v10, v11 op_sel:[0,1] op_sel_hi:[1,0] neg_lo:[0,1] neg_hi:[0,1]
	v_pk_add_f16 v12, v12, v11 op_sel:[0,1] op_sel_hi:[1,0] neg_lo:[0,1] neg_hi:[0,1]
	;; [unrolled: 1-line block ×3, first 2 shown]
	v_bfi_b32 v9, s0, v9, v10
	v_bfi_b32 v7, s0, v12, v7
	ds_write_b32 v25, v9
	ds_write_b32 v8, v7 offset:2016
	ds_read_b32 v7, v24
	ds_read_b32 v9, v8 offset:1764
	s_waitcnt lgkmcnt(0)
	v_pk_add_f16 v10, v7, v9 neg_lo:[0,1] neg_hi:[0,1]
	v_pk_add_f16 v7, v7, v9
	v_bfi_b32 v9, s0, v10, v7
	v_bfi_b32 v7, s0, v7, v10
	v_pk_mul_f16 v9, v9, 0.5 op_sel_hi:[1,0]
	v_pk_mul_f16 v7, v7, 0.5 op_sel_hi:[1,0]
	s_waitcnt vmcnt(1)
	v_pk_fma_f16 v10, v20, v9, v7 op_sel:[1,0,0]
	v_pk_mul_f16 v11, v20, v9 op_sel_hi:[0,1]
	v_pk_fma_f16 v12, v20, v9, v7 op_sel:[1,0,0] neg_lo:[1,0,0] neg_hi:[1,0,0]
	v_pk_fma_f16 v7, v20, v9, v7 op_sel:[1,0,0] neg_lo:[0,0,1] neg_hi:[0,0,1]
	v_pk_add_f16 v9, v10, v11 op_sel:[0,1] op_sel_hi:[1,0]
	v_pk_add_f16 v10, v10, v11 op_sel:[0,1] op_sel_hi:[1,0] neg_lo:[0,1] neg_hi:[0,1]
	v_pk_add_f16 v12, v12, v11 op_sel:[0,1] op_sel_hi:[1,0] neg_lo:[0,1] neg_hi:[0,1]
	;; [unrolled: 1-line block ×3, first 2 shown]
	v_bfi_b32 v9, s0, v9, v10
	v_bfi_b32 v7, s0, v12, v7
	ds_write_b32 v24, v9
	ds_write_b32 v8, v7 offset:1764
	ds_read_b32 v7, v0 offset:1008
	ds_read_b32 v9, v8 offset:1512
	s_waitcnt lgkmcnt(0)
	v_pk_add_f16 v10, v7, v9 neg_lo:[0,1] neg_hi:[0,1]
	v_pk_add_f16 v7, v7, v9
	v_bfi_b32 v9, s0, v10, v7
	v_bfi_b32 v7, s0, v7, v10
	v_pk_mul_f16 v9, v9, 0.5 op_sel_hi:[1,0]
	v_pk_mul_f16 v7, v7, 0.5 op_sel_hi:[1,0]
	s_waitcnt vmcnt(0)
	v_pk_fma_f16 v10, v6, v9, v7 op_sel:[1,0,0]
	v_pk_mul_f16 v11, v6, v9 op_sel_hi:[0,1]
	v_pk_fma_f16 v12, v6, v9, v7 op_sel:[1,0,0] neg_lo:[1,0,0] neg_hi:[1,0,0]
	v_pk_fma_f16 v6, v6, v9, v7 op_sel:[1,0,0] neg_lo:[0,0,1] neg_hi:[0,0,1]
	v_pk_add_f16 v7, v10, v11 op_sel:[0,1] op_sel_hi:[1,0]
	v_pk_add_f16 v9, v10, v11 op_sel:[0,1] op_sel_hi:[1,0] neg_lo:[0,1] neg_hi:[0,1]
	v_pk_add_f16 v10, v12, v11 op_sel:[0,1] op_sel_hi:[1,0] neg_lo:[0,1] neg_hi:[0,1]
	;; [unrolled: 1-line block ×3, first 2 shown]
	v_bfi_b32 v7, s0, v7, v9
	v_bfi_b32 v6, s0, v10, v6
	ds_write_b32 v0, v7 offset:1008
	ds_write_b32 v8, v6 offset:1512
	s_waitcnt lgkmcnt(0)
	; wave barrier
	s_waitcnt lgkmcnt(0)
	s_and_saveexec_b64 s[0:1], vcc
	s_cbranch_execz .LBB0_30
; %bb.28:
	v_mul_lo_u32 v0, s5, v3
	v_mul_lo_u32 v6, s4, v4
	v_mad_u64_u32 v[3:4], s[0:1], s4, v3, 0
	v_lshl_add_u32 v9, v5, 2, 0
	ds_read2_b32 v[7:8], v9 offset1:63
	v_add3_u32 v4, v4, v6, v0
	v_lshlrev_b64 v[3:4], 2, v[3:4]
	v_mov_b32_e32 v0, s11
	v_add_co_u32_e32 v3, vcc, s10, v3
	v_addc_co_u32_e32 v4, vcc, v0, v4, vcc
	v_lshlrev_b64 v[0:1], 2, v[1:2]
	v_mov_b32_e32 v6, 0
	v_add_co_u32_e32 v0, vcc, v3, v0
	v_lshlrev_b64 v[2:3], 2, v[5:6]
	v_addc_co_u32_e32 v1, vcc, v4, v1, vcc
	v_add_co_u32_e32 v2, vcc, v0, v2
	v_addc_co_u32_e32 v3, vcc, v1, v3, vcc
	s_waitcnt lgkmcnt(0)
	global_store_dword v[2:3], v7, off
	v_add_u32_e32 v2, 63, v5
	v_mov_b32_e32 v3, v6
	v_lshlrev_b64 v[2:3], 2, v[2:3]
	v_add_u32_e32 v4, 0x200, v9
	v_add_co_u32_e32 v2, vcc, v0, v2
	v_addc_co_u32_e32 v3, vcc, v1, v3, vcc
	global_store_dword v[2:3], v8, off
	v_add_u32_e32 v2, 0x7e, v5
	v_mov_b32_e32 v3, v6
	ds_read2_b32 v[7:8], v9 offset0:126 offset1:189
	v_lshlrev_b64 v[2:3], 2, v[2:3]
	v_add_co_u32_e32 v2, vcc, v0, v2
	v_addc_co_u32_e32 v3, vcc, v1, v3, vcc
	s_waitcnt lgkmcnt(0)
	global_store_dword v[2:3], v7, off
	v_add_u32_e32 v2, 0xbd, v5
	v_mov_b32_e32 v3, v6
	v_lshlrev_b64 v[2:3], 2, v[2:3]
	v_add_co_u32_e32 v2, vcc, v0, v2
	v_addc_co_u32_e32 v3, vcc, v1, v3, vcc
	global_store_dword v[2:3], v8, off
	v_add_u32_e32 v2, 0xfc, v5
	v_mov_b32_e32 v3, v6
	ds_read2_b32 v[7:8], v4 offset0:124 offset1:187
	v_lshlrev_b64 v[2:3], 2, v[2:3]
	v_add_u32_e32 v4, 0x400, v9
	v_add_co_u32_e32 v2, vcc, v0, v2
	v_addc_co_u32_e32 v3, vcc, v1, v3, vcc
	s_waitcnt lgkmcnt(0)
	global_store_dword v[2:3], v7, off
	v_add_u32_e32 v2, 0x13b, v5
	v_mov_b32_e32 v3, v6
	v_lshlrev_b64 v[2:3], 2, v[2:3]
	v_add_co_u32_e32 v2, vcc, v0, v2
	v_addc_co_u32_e32 v3, vcc, v1, v3, vcc
	global_store_dword v[2:3], v8, off
	v_add_u32_e32 v2, 0x17a, v5
	v_mov_b32_e32 v3, v6
	ds_read2_b32 v[7:8], v4 offset0:122 offset1:185
	v_lshlrev_b64 v[2:3], 2, v[2:3]
	v_add_u32_e32 v4, 0x600, v9
	v_add_co_u32_e32 v2, vcc, v0, v2
	v_addc_co_u32_e32 v3, vcc, v1, v3, vcc
	s_waitcnt lgkmcnt(0)
	global_store_dword v[2:3], v7, off
	v_add_u32_e32 v2, 0x1b9, v5
	v_mov_b32_e32 v3, v6
	v_lshlrev_b64 v[2:3], 2, v[2:3]
	v_add_co_u32_e32 v2, vcc, v0, v2
	v_addc_co_u32_e32 v3, vcc, v1, v3, vcc
	global_store_dword v[2:3], v8, off
	v_add_u32_e32 v2, 0x1f8, v5
	v_mov_b32_e32 v3, v6
	ds_read2_b32 v[7:8], v4 offset0:120 offset1:183
	v_lshlrev_b64 v[2:3], 2, v[2:3]
	v_add_co_u32_e32 v2, vcc, v0, v2
	v_addc_co_u32_e32 v3, vcc, v1, v3, vcc
	s_waitcnt lgkmcnt(0)
	global_store_dword v[2:3], v7, off
	v_add_u32_e32 v2, 0x237, v5
	v_mov_b32_e32 v3, v6
	v_lshlrev_b64 v[2:3], 2, v[2:3]
	v_add_co_u32_e32 v2, vcc, v0, v2
	v_addc_co_u32_e32 v3, vcc, v1, v3, vcc
	v_cmp_eq_u32_e32 vcc, 62, v5
	global_store_dword v[2:3], v8, off
	s_and_b64 exec, exec, vcc
	s_cbranch_execz .LBB0_30
; %bb.29:
	ds_read_b32 v2, v6 offset:2520
	s_waitcnt lgkmcnt(0)
	global_store_dword v[0:1], v2, off offset:2520
.LBB0_30:
	s_endpgm
	.section	.rodata,"a",@progbits
	.p2align	6, 0x0
	.amdhsa_kernel fft_rtc_fwd_len630_factors_3_3_5_7_2_wgs_63_tpt_63_halfLds_half_op_CI_CI_unitstride_sbrr_R2C_dirReg
		.amdhsa_group_segment_fixed_size 0
		.amdhsa_private_segment_fixed_size 0
		.amdhsa_kernarg_size 104
		.amdhsa_user_sgpr_count 6
		.amdhsa_user_sgpr_private_segment_buffer 1
		.amdhsa_user_sgpr_dispatch_ptr 0
		.amdhsa_user_sgpr_queue_ptr 0
		.amdhsa_user_sgpr_kernarg_segment_ptr 1
		.amdhsa_user_sgpr_dispatch_id 0
		.amdhsa_user_sgpr_flat_scratch_init 0
		.amdhsa_user_sgpr_private_segment_size 0
		.amdhsa_uses_dynamic_stack 0
		.amdhsa_system_sgpr_private_segment_wavefront_offset 0
		.amdhsa_system_sgpr_workgroup_id_x 1
		.amdhsa_system_sgpr_workgroup_id_y 0
		.amdhsa_system_sgpr_workgroup_id_z 0
		.amdhsa_system_sgpr_workgroup_info 0
		.amdhsa_system_vgpr_workitem_id 0
		.amdhsa_next_free_vgpr 59
		.amdhsa_next_free_sgpr 28
		.amdhsa_reserve_vcc 1
		.amdhsa_reserve_flat_scratch 0
		.amdhsa_float_round_mode_32 0
		.amdhsa_float_round_mode_16_64 0
		.amdhsa_float_denorm_mode_32 3
		.amdhsa_float_denorm_mode_16_64 3
		.amdhsa_dx10_clamp 1
		.amdhsa_ieee_mode 1
		.amdhsa_fp16_overflow 0
		.amdhsa_exception_fp_ieee_invalid_op 0
		.amdhsa_exception_fp_denorm_src 0
		.amdhsa_exception_fp_ieee_div_zero 0
		.amdhsa_exception_fp_ieee_overflow 0
		.amdhsa_exception_fp_ieee_underflow 0
		.amdhsa_exception_fp_ieee_inexact 0
		.amdhsa_exception_int_div_zero 0
	.end_amdhsa_kernel
	.text
.Lfunc_end0:
	.size	fft_rtc_fwd_len630_factors_3_3_5_7_2_wgs_63_tpt_63_halfLds_half_op_CI_CI_unitstride_sbrr_R2C_dirReg, .Lfunc_end0-fft_rtc_fwd_len630_factors_3_3_5_7_2_wgs_63_tpt_63_halfLds_half_op_CI_CI_unitstride_sbrr_R2C_dirReg
                                        ; -- End function
	.section	.AMDGPU.csdata,"",@progbits
; Kernel info:
; codeLenInByte = 8756
; NumSgprs: 32
; NumVgprs: 59
; ScratchSize: 0
; MemoryBound: 0
; FloatMode: 240
; IeeeMode: 1
; LDSByteSize: 0 bytes/workgroup (compile time only)
; SGPRBlocks: 3
; VGPRBlocks: 14
; NumSGPRsForWavesPerEU: 32
; NumVGPRsForWavesPerEU: 59
; Occupancy: 4
; WaveLimiterHint : 1
; COMPUTE_PGM_RSRC2:SCRATCH_EN: 0
; COMPUTE_PGM_RSRC2:USER_SGPR: 6
; COMPUTE_PGM_RSRC2:TRAP_HANDLER: 0
; COMPUTE_PGM_RSRC2:TGID_X_EN: 1
; COMPUTE_PGM_RSRC2:TGID_Y_EN: 0
; COMPUTE_PGM_RSRC2:TGID_Z_EN: 0
; COMPUTE_PGM_RSRC2:TIDIG_COMP_CNT: 0
	.type	__hip_cuid_8ea3d5f165a7e418,@object ; @__hip_cuid_8ea3d5f165a7e418
	.section	.bss,"aw",@nobits
	.globl	__hip_cuid_8ea3d5f165a7e418
__hip_cuid_8ea3d5f165a7e418:
	.byte	0                               ; 0x0
	.size	__hip_cuid_8ea3d5f165a7e418, 1

	.ident	"AMD clang version 19.0.0git (https://github.com/RadeonOpenCompute/llvm-project roc-6.4.0 25133 c7fe45cf4b819c5991fe208aaa96edf142730f1d)"
	.section	".note.GNU-stack","",@progbits
	.addrsig
	.addrsig_sym __hip_cuid_8ea3d5f165a7e418
	.amdgpu_metadata
---
amdhsa.kernels:
  - .args:
      - .actual_access:  read_only
        .address_space:  global
        .offset:         0
        .size:           8
        .value_kind:     global_buffer
      - .offset:         8
        .size:           8
        .value_kind:     by_value
      - .actual_access:  read_only
        .address_space:  global
        .offset:         16
        .size:           8
        .value_kind:     global_buffer
      - .actual_access:  read_only
        .address_space:  global
        .offset:         24
        .size:           8
        .value_kind:     global_buffer
      - .actual_access:  read_only
        .address_space:  global
        .offset:         32
        .size:           8
        .value_kind:     global_buffer
      - .offset:         40
        .size:           8
        .value_kind:     by_value
      - .actual_access:  read_only
        .address_space:  global
        .offset:         48
        .size:           8
        .value_kind:     global_buffer
      - .actual_access:  read_only
        .address_space:  global
        .offset:         56
        .size:           8
        .value_kind:     global_buffer
      - .offset:         64
        .size:           4
        .value_kind:     by_value
      - .actual_access:  read_only
        .address_space:  global
        .offset:         72
        .size:           8
        .value_kind:     global_buffer
      - .actual_access:  read_only
        .address_space:  global
        .offset:         80
        .size:           8
        .value_kind:     global_buffer
      - .actual_access:  read_only
        .address_space:  global
        .offset:         88
        .size:           8
        .value_kind:     global_buffer
      - .actual_access:  write_only
        .address_space:  global
        .offset:         96
        .size:           8
        .value_kind:     global_buffer
    .group_segment_fixed_size: 0
    .kernarg_segment_align: 8
    .kernarg_segment_size: 104
    .language:       OpenCL C
    .language_version:
      - 2
      - 0
    .max_flat_workgroup_size: 63
    .name:           fft_rtc_fwd_len630_factors_3_3_5_7_2_wgs_63_tpt_63_halfLds_half_op_CI_CI_unitstride_sbrr_R2C_dirReg
    .private_segment_fixed_size: 0
    .sgpr_count:     32
    .sgpr_spill_count: 0
    .symbol:         fft_rtc_fwd_len630_factors_3_3_5_7_2_wgs_63_tpt_63_halfLds_half_op_CI_CI_unitstride_sbrr_R2C_dirReg.kd
    .uniform_work_group_size: 1
    .uses_dynamic_stack: false
    .vgpr_count:     59
    .vgpr_spill_count: 0
    .wavefront_size: 64
amdhsa.target:   amdgcn-amd-amdhsa--gfx906
amdhsa.version:
  - 1
  - 2
...

	.end_amdgpu_metadata
